;; amdgpu-corpus repo=zjin-lcf/HeCBench kind=compiled arch=gfx90a opt=O3
	.text
	.amdgcn_target "amdgcn-amd-amdhsa--gfx90a"
	.amdhsa_code_object_version 6
	.protected	_Z11toneMappingPKfPfffffjjj ; -- Begin function _Z11toneMappingPKfPfffffjjj
	.globl	_Z11toneMappingPKfPfffffjjj
	.p2align	8
	.type	_Z11toneMappingPKfPfffffjjj,@function
_Z11toneMappingPKfPfffffjjj:            ; @_Z11toneMappingPKfPfffffjjj
; %bb.0:
	s_load_dword s0, s[4:5], 0x3c
	s_load_dwordx4 s[16:19], s[4:5], 0x20
	s_load_dwordx8 s[8:15], s[4:5], 0x0
	v_and_b32_e32 v1, 0x3ff, v0
	v_bfe_u32 v0, v0, 10, 10
	s_waitcnt lgkmcnt(0)
	s_and_b32 s1, s0, 0xffff
	s_lshr_b32 s0, s0, 16
	s_mul_i32 s7, s7, s0
	s_mul_i32 s6, s6, s1
	v_add_u32_e32 v13, s6, v1
	v_add_u32_e32 v15, s7, v0
	s_mul_i32 s6, s17, s16
	v_mul_lo_u32 v14, v15, s6
	v_mul_lo_u32 v10, v13, s17
	v_add_u32_e32 v6, v14, v10
	v_mov_b32_e32 v7, 0
	v_lshlrev_b64 v[0:1], 2, v[6:7]
	v_mov_b32_e32 v16, s9
	v_add_co_u32_e32 v4, vcc, s8, v0
	v_add_u32_e32 v2, 1, v6
	v_mov_b32_e32 v3, v7
	v_addc_co_u32_e32 v5, vcc, v16, v1, vcc
	v_lshlrev_b64 v[2:3], 2, v[2:3]
	v_add_co_u32_e32 v8, vcc, s8, v2
	v_addc_co_u32_e32 v9, vcc, v16, v3, vcc
	global_load_dword v11, v[4:5], off
	global_load_dword v12, v[8:9], off
	v_add_u32_e32 v4, 2, v6
	v_mov_b32_e32 v5, v7
	v_lshlrev_b64 v[4:5], 2, v[4:5]
	v_add_co_u32_e32 v8, vcc, s8, v4
	v_addc_co_u32_e32 v9, vcc, v16, v5, vcc
	global_load_dword v8, v[8:9], off
	s_add_i32 s2, s16, -1
	v_cmp_ne_u32_e32 vcc, 0, v13
	v_cmp_ne_u32_e64 s[0:1], 0, v15
	s_add_i32 s4, s18, -1
	v_cmp_ne_u32_e64 s[2:3], s2, v13
	s_and_b64 s[0:1], vcc, s[0:1]
	v_cmp_ne_u32_e64 s[4:5], s4, v15
	s_and_b64 s[0:1], s[2:3], s[0:1]
	s_and_b64 s[2:3], s[4:5], s[0:1]
	s_waitcnt vmcnt(1)
	v_mul_f32_e32 v9, 0x3f371759, v12
	v_fmac_f32_e32 v9, 0x3e59b3d0, v11
	s_waitcnt vmcnt(0)
	v_fmac_f32_e32 v9, 0x3d93dd98, v8
	v_mov_b32_e32 v13, v9
	s_and_saveexec_b64 s[0:1], s[2:3]
	s_cbranch_execz .LBB0_2
; %bb.1:
	v_subrev_u32_e32 v15, s6, v14
	v_subrev_u32_e32 v34, s17, v10
	v_add_u32_e32 v16, v15, v34
	v_mov_b32_e32 v17, v7
	v_lshlrev_b64 v[18:19], 2, v[16:17]
	v_mov_b32_e32 v13, s9
	v_add_co_u32_e32 v18, vcc, s8, v18
	v_add_u32_e32 v20, 1, v16
	v_mov_b32_e32 v21, v7
	v_addc_co_u32_e32 v19, vcc, v13, v19, vcc
	v_lshlrev_b64 v[20:21], 2, v[20:21]
	v_add_co_u32_e32 v20, vcc, s8, v20
	v_add_u32_e32 v16, 2, v16
	v_addc_co_u32_e32 v21, vcc, v13, v21, vcc
	v_lshlrev_b64 v[16:17], 2, v[16:17]
	v_add_co_u32_e32 v16, vcc, s8, v16
	v_add_u32_e32 v22, v15, v10
	v_mov_b32_e32 v23, v7
	v_addc_co_u32_e32 v17, vcc, v13, v17, vcc
	v_lshlrev_b64 v[24:25], 2, v[22:23]
	v_add_co_u32_e32 v24, vcc, s8, v24
	v_add_u32_e32 v26, 1, v22
	v_mov_b32_e32 v27, v7
	v_addc_co_u32_e32 v25, vcc, v13, v25, vcc
	v_lshlrev_b64 v[26:27], 2, v[26:27]
	v_add_co_u32_e32 v26, vcc, s8, v26
	v_add_u32_e32 v22, 2, v22
	v_addc_co_u32_e32 v27, vcc, v13, v27, vcc
	v_lshlrev_b64 v[22:23], 2, v[22:23]
	v_add_co_u32_e32 v22, vcc, s8, v22
	v_add_u32_e32 v28, v14, v34
	v_mov_b32_e32 v29, v7
	v_addc_co_u32_e32 v23, vcc, v13, v23, vcc
	v_lshlrev_b64 v[30:31], 2, v[28:29]
	v_add_co_u32_e32 v30, vcc, s8, v30
	v_add_u32_e32 v32, 1, v28
	v_mov_b32_e32 v33, v7
	v_addc_co_u32_e32 v31, vcc, v13, v31, vcc
	v_lshlrev_b64 v[32:33], 2, v[32:33]
	v_add_co_u32_e32 v32, vcc, s8, v32
	v_addc_co_u32_e32 v33, vcc, v13, v33, vcc
	global_load_dword v35, v[18:19], off
	global_load_dword v36, v[20:21], off
	;; [unrolled: 1-line block ×8, first 2 shown]
	v_add_u32_e32 v16, 2, v28
	v_mov_b32_e32 v17, v7
	v_lshlrev_b64 v[16:17], 2, v[16:17]
	v_add_u32_e32 v33, s17, v10
	v_add_co_u32_e32 v16, vcc, s8, v16
	v_add_u32_e32 v18, v15, v33
	v_mov_b32_e32 v19, v7
	v_addc_co_u32_e32 v17, vcc, v13, v17, vcc
	v_lshlrev_b64 v[20:21], 2, v[18:19]
	v_add_co_u32_e32 v20, vcc, s8, v20
	v_add_u32_e32 v22, 1, v18
	v_mov_b32_e32 v23, v7
	v_addc_co_u32_e32 v21, vcc, v13, v21, vcc
	v_lshlrev_b64 v[22:23], 2, v[22:23]
	v_add_co_u32_e32 v22, vcc, s8, v22
	v_add_u32_e32 v18, 2, v18
	v_addc_co_u32_e32 v23, vcc, v13, v23, vcc
	v_lshlrev_b64 v[18:19], 2, v[18:19]
	v_add_u32_e32 v32, s6, v14
	v_add_co_u32_e32 v18, vcc, s8, v18
	v_add_u32_e32 v14, v14, v33
	v_mov_b32_e32 v15, v7
	v_addc_co_u32_e32 v19, vcc, v13, v19, vcc
	v_lshlrev_b64 v[24:25], 2, v[14:15]
	v_add_co_u32_e32 v24, vcc, s8, v24
	v_add_u32_e32 v26, 1, v14
	v_mov_b32_e32 v27, v7
	v_addc_co_u32_e32 v25, vcc, v13, v25, vcc
	v_lshlrev_b64 v[26:27], 2, v[26:27]
	v_add_co_u32_e32 v26, vcc, s8, v26
	v_add_u32_e32 v14, 2, v14
	v_addc_co_u32_e32 v27, vcc, v13, v27, vcc
	v_lshlrev_b64 v[14:15], 2, v[14:15]
	v_add_co_u32_e32 v14, vcc, s8, v14
	v_add_u32_e32 v28, v32, v34
	v_addc_co_u32_e32 v15, vcc, v13, v15, vcc
	v_lshlrev_b64 v[30:31], 2, v[28:29]
	v_add_co_u32_e32 v30, vcc, s8, v30
	v_addc_co_u32_e32 v31, vcc, v13, v31, vcc
	global_load_dword v34, v[16:17], off
	global_load_dword v43, v[20:21], off
	;; [unrolled: 1-line block ×8, first 2 shown]
	v_add_u32_e32 v14, 1, v28
	v_mov_b32_e32 v15, v7
	v_lshlrev_b64 v[14:15], 2, v[14:15]
	v_add_co_u32_e32 v14, vcc, s8, v14
	v_add_u32_e32 v16, 2, v28
	v_mov_b32_e32 v17, v7
	v_addc_co_u32_e32 v15, vcc, v13, v15, vcc
	v_lshlrev_b64 v[16:17], 2, v[16:17]
	v_add_co_u32_e32 v16, vcc, s8, v16
	v_add_u32_e32 v18, v32, v10
	v_mov_b32_e32 v19, v7
	v_addc_co_u32_e32 v17, vcc, v13, v17, vcc
	;; [unrolled: 5-line block ×3, first 2 shown]
	v_lshlrev_b64 v[22:23], 2, v[22:23]
	v_add_co_u32_e32 v22, vcc, s8, v22
	v_add_u32_e32 v18, 2, v18
	v_addc_co_u32_e32 v23, vcc, v13, v23, vcc
	v_lshlrev_b64 v[18:19], 2, v[18:19]
	v_add_co_u32_e32 v18, vcc, s8, v18
	v_add_u32_e32 v24, v32, v33
	v_mov_b32_e32 v25, v7
	v_addc_co_u32_e32 v19, vcc, v13, v19, vcc
	v_lshlrev_b64 v[26:27], 2, v[24:25]
	v_add_co_u32_e32 v26, vcc, s8, v26
	v_add_u32_e32 v28, 1, v24
	v_addc_co_u32_e32 v27, vcc, v13, v27, vcc
	v_lshlrev_b64 v[28:29], 2, v[28:29]
	v_add_co_u32_e32 v28, vcc, s8, v28
	v_addc_co_u32_e32 v29, vcc, v13, v29, vcc
	global_load_dword v10, v[14:15], off
	global_load_dword v25, v[16:17], off
	;; [unrolled: 1-line block ×7, first 2 shown]
	v_add_u32_e32 v14, 2, v24
	v_mov_b32_e32 v15, v7
	v_lshlrev_b64 v[14:15], 2, v[14:15]
	v_add_co_u32_e32 v14, vcc, s8, v14
	v_addc_co_u32_e32 v15, vcc, v13, v15, vcc
	global_load_dword v13, v[14:15], off
	s_waitcnt vmcnt(22)
	v_mul_f32_e32 v14, 0x3f371759, v36
	s_waitcnt vmcnt(19)
	v_mul_f32_e32 v15, 0x3f371759, v39
	v_fmac_f32_e32 v14, 0x3e59b3d0, v35
	v_fmac_f32_e32 v15, 0x3e59b3d0, v38
	;; [unrolled: 1-line block ×3, first 2 shown]
	s_waitcnt vmcnt(18)
	v_fmac_f32_e32 v15, 0x3d93dd98, v40
	s_waitcnt vmcnt(16)
	v_mul_f32_e32 v16, 0x3f371759, v42
	v_fmac_f32_e32 v16, 0x3e59b3d0, v41
	s_waitcnt vmcnt(15)
	v_fmac_f32_e32 v16, 0x3d93dd98, v34
	s_waitcnt vmcnt(13)
	v_mul_f32_e32 v17, 0x3f371759, v44
	v_fmac_f32_e32 v17, 0x3e59b3d0, v43
	;; [unrolled: 5-line block ×6, first 2 shown]
	s_waitcnt vmcnt(0)
	v_fmac_f32_e32 v20, 0x3d93dd98, v13
	v_add_f32_e32 v13, v14, v15
	v_add_f32_e32 v13, v13, v17
	;; [unrolled: 1-line block ×7, first 2 shown]
	v_mul_f32_e32 v13, 0x3e000000, v10
.LBB0_2:
	s_or_b64 exec, exec, s[0:1]
	v_div_scale_f32 v10, s[0:1], v9, v9, v13
	v_rcp_f32_e32 v14, v10
	v_div_scale_f32 v15, vcc, v13, v9, v13
	s_mov_b32 s0, 0x800000
	v_fma_f32 v16, -v10, v14, 1.0
	v_fmac_f32_e32 v14, v16, v14
	v_mul_f32_e32 v16, v15, v14
	v_fma_f32 v17, -v10, v16, v15
	v_fmac_f32_e32 v16, v17, v14
	v_fma_f32 v10, -v10, v16, v15
	v_div_fmas_f32 v10, v10, v14, v16
	v_div_fixup_f32 v10, v10, v9, v13
	v_add_f32_e32 v10, s15, v10
	v_mov_b32_e32 v14, 0x4f800000
	v_cmp_gt_f32_e32 vcc, s0, v10
	v_cndmask_b32_e32 v14, 1.0, v14, vcc
	v_mul_f32_e32 v10, v10, v14
	v_log_f32_e32 v10, v10
	s_mov_b32 s0, 0x3f317217
	s_mov_b32 s6, 0x7f800000
	;; [unrolled: 1-line block ×3, first 2 shown]
	v_mul_f32_e32 v14, 0x3f317217, v10
	v_fma_f32 v15, v10, s0, -v14
	v_fmac_f32_e32 v15, 0x3377d1cf, v10
	v_add_f32_e32 v14, v14, v15
	v_cmp_lt_f32_e64 s[0:1], |v10|, s6
	v_cndmask_b32_e64 v10, v10, v14, s[0:1]
	v_mov_b32_e32 v14, 0x41b17218
	v_cndmask_b32_e32 v14, 0, v14, vcc
	v_sub_f32_e32 v10, v10, v14
	v_mul_f32_e32 v10, v13, v10
	v_mov_b32_e32 v13, s14
	v_fmac_f32_e32 v10, s12, v13
	v_add_f32_e32 v10, v9, v10
	v_div_scale_f32 v13, s[0:1], v10, v10, v9
	v_rcp_f32_e32 v14, v13
	s_mov_b32 s17, 0x3f317218
	s_movk_i32 s7, 0x204
	s_mov_b32 s12, 0x42b17218
	v_fma_f32 v15, -v13, v14, 1.0
	v_fmac_f32_e32 v14, v15, v14
	v_div_scale_f32 v15, vcc, v9, v10, v9
	v_mul_f32_e32 v16, v15, v14
	v_fma_f32 v17, -v13, v16, v15
	v_fmac_f32_e32 v16, v17, v14
	v_fma_f32 v13, -v13, v16, v15
	v_div_scale_f32 v15, s[0:1], v9, v9, v11
	v_rcp_f32_e32 v17, v15
	v_div_fmas_f32 v13, v13, v14, v16
	v_div_fixup_f32 v10, v13, v10, v9
	s_mov_b32 s14, 0x3fb8aa3b
	v_fma_f32 v13, -v15, v17, 1.0
	v_fmac_f32_e32 v17, v13, v17
	v_div_scale_f32 v13, vcc, v11, v9, v11
	v_mul_f32_e32 v14, v13, v17
	v_fma_f32 v16, -v15, v14, v13
	v_fmac_f32_e32 v14, v16, v17
	v_fma_f32 v13, -v15, v14, v13
	v_div_fmas_f32 v13, v13, v17, v14
	v_div_fixup_f32 v34, v13, v9, v11
	v_mov_b32_e32 v11, s13
	v_cmp_eq_f32_e32 vcc, 1.0, v34
	v_cndmask_b32_e64 v35, v11, 1.0, vcc
	v_cmp_eq_f32_e64 s[0:1], 0, v35
	v_cndmask_b32_e64 v36, |v34|, 1.0, s[0:1]
	v_frexp_mant_f32_e32 v13, v36
	v_cmp_gt_f32_e64 s[2:3], s16, v13
	v_cndmask_b32_e64 v14, 1.0, 2.0, s[2:3]
	v_mul_f32_e32 v13, v13, v14
	v_add_f32_e32 v14, 1.0, v13
	v_rcp_f32_e32 v22, v14
	v_add_f32_e32 v15, -1.0, v14
	v_sub_f32_e32 v17, v13, v15
	v_add_f32_e32 v15, -1.0, v13
	v_mul_f32_e32 v13, v15, v22
	v_mul_f32_e32 v16, v14, v13
	v_fma_f32 v18, v13, v14, -v16
	v_fmac_f32_e32 v18, v13, v17
	v_add_f32_e32 v14, v16, v18
	v_sub_f32_e32 v17, v15, v14
	v_pk_add_f32 v[20:21], v[14:15], v[16:17] neg_lo:[0,1] neg_hi:[0,1]
	v_mov_b32_e32 v19, v14
	v_pk_add_f32 v[14:15], v[20:21], v[18:19] neg_lo:[0,1] neg_hi:[0,1]
	v_add_f32_e32 v14, v14, v15
	v_add_f32_e32 v14, v17, v14
	v_mul_f32_e32 v15, v22, v14
	v_add_f32_e32 v14, v13, v15
	v_sub_f32_e32 v13, v14, v13
	v_sub_f32_e32 v13, v15, v13
	v_mul_f32_e32 v15, v14, v14
	v_fma_f32 v16, v14, v14, -v15
	v_add_f32_e32 v17, v13, v13
	v_fmac_f32_e32 v16, v14, v17
	v_add_f32_e32 v20, v15, v16
	v_mov_b32_e32 v19, 0x3e91f4c4
	v_fmac_f32_e32 v19, 0x3e76c4e1, v20
	v_mov_b32_e32 v17, 0x3ecccdef
	v_fma_f32 v19, v20, v19, v17
	v_sub_f32_e32 v15, v20, v15
	v_sub_f32_e32 v16, v16, v15
	v_mul_f32_e32 v15, v20, v19
	v_fma_f32 v21, v20, v19, -v15
	v_fmac_f32_e32 v21, v16, v19
	v_add_f32_e32 v19, v15, v21
	v_add_f32_e32 v23, 0x3f2aaaaa, v19
	v_sub_f32_e32 v15, v19, v15
	v_sub_f32_e32 v15, v21, v15
	v_add_f32_e32 v21, 0xbf2aaaaa, v23
	v_add_f32_e32 v15, 0x31739010, v15
	v_sub_f32_e32 v21, v19, v21
	v_pk_mul_f32 v[24:25], v[14:15], v[20:21]
	v_fma_f32 v22, v20, v14, -v24
	v_pk_add_f32 v[26:27], v[14:15], v[20:21]
	v_fmac_f32_e32 v22, v20, v13
	v_mov_b32_e32 v25, v27
	v_fmac_f32_e32 v22, v16, v14
	v_pk_add_f32 v[20:21], v[24:25], v[22:23]
	v_sub_f32_e32 v16, v23, v21
	v_sub_f32_e32 v15, v20, v24
	v_add_f32_e32 v19, v27, v16
	v_mov_b32_e32 v16, v21
	v_cvt_f64_f32_e32 v[26:27], v36
	v_sub_f32_e32 v15, v22, v15
	v_pk_mul_f32 v[22:23], v[20:21], v[16:17]
	v_frexp_exp_i32_f64_e32 v16, v[26:27]
	v_subbrev_co_u32_e64 v16, s[2:3], 0, v16, s[2:3]
	v_cvt_f32_i32_e32 v16, v16
	v_fma_f32 v24, v20, v21, -v22
	v_fmac_f32_e32 v24, v20, v19
	v_fmac_f32_e32 v24, v15, v21
	v_mul_f32_e32 v20, 0x3f317218, v16
	v_fma_f32 v26, v16, s17, -v20
	v_fmac_f32_e32 v26, 0xb102e308, v16
	v_ldexp_f32 v27, v14, 1
	v_add_f32_e32 v21, v22, v24
	v_pk_add_f32 v[14:15], v[20:21], v[26:27]
	v_mov_b32_e32 v28, v21
	v_mov_b32_e32 v29, v15
	;; [unrolled: 1-line block ×3, first 2 shown]
	v_pk_add_f32 v[22:23], v[28:29], v[22:23] neg_lo:[0,1] neg_hi:[0,1]
	v_mov_b32_e32 v25, v21
	v_ldexp_f32 v13, v13, 1
	v_pk_add_f32 v[22:23], v[24:25], v[22:23] neg_lo:[0,1] neg_hi:[0,1]
	v_add_f32_e32 v13, v13, v22
	v_add_f32_e32 v21, v13, v23
	v_pk_add_f32 v[22:23], v[14:15], v[20:21] neg_lo:[0,1] neg_hi:[0,1]
	v_pk_add_f32 v[24:25], v[14:15], v[20:21]
	v_mov_b32_e32 v28, v22
	v_mov_b32_e32 v29, v25
	;; [unrolled: 1-line block ×3, first 2 shown]
	v_pk_add_f32 v[28:29], v[26:27], v[28:29]
	v_mov_b32_e32 v16, v29
	v_pk_add_f32 v[30:31], v[16:17], v[14:15] neg_lo:[0,1] neg_hi:[0,1]
	v_mov_b32_e32 v13, v30
	v_mov_b32_e32 v28, v25
	;; [unrolled: 1-line block ×4, first 2 shown]
	v_pk_add_f32 v[22:23], v[26:27], v[22:23] neg_lo:[0,1] neg_hi:[0,1]
	v_pk_add_f32 v[32:33], v[24:25], v[12:13] neg_lo:[0,1] neg_hi:[0,1]
	;; [unrolled: 1-line block ×3, first 2 shown]
	v_mov_b32_e32 v26, v21
	v_pk_add_f32 v[14:15], v[26:27], v[14:15] neg_lo:[0,1] neg_hi:[0,1]
	v_mov_b32_e32 v32, v22
	v_pk_add_f32 v[20:21], v[32:33], v[14:15]
	v_mov_b32_e32 v24, v21
	v_pk_add_f32 v[24:25], v[20:21], v[24:25]
	v_pk_add_f32 v[26:27], v[16:17], v[24:25]
	v_mov_b32_e32 v23, v29
	v_mov_b32_e32 v21, v26
	v_pk_add_f32 v[28:29], v[20:21], v[22:23] neg_lo:[0,1] neg_hi:[0,1]
	v_mov_b32_e32 v15, v24
	v_sub_f32_e32 v13, v20, v28
	v_pk_add_f32 v[14:15], v[14:15], v[28:29] neg_lo:[0,1] neg_hi:[0,1]
	v_sub_f32_e32 v13, v22, v13
	v_add_f32_e32 v13, v14, v13
	v_add_f32_e32 v13, v13, v15
	;; [unrolled: 1-line block ×3, first 2 shown]
	v_sub_f32_e32 v15, v14, v26
	v_sub_f32_e32 v13, v13, v15
	v_mul_f32_e32 v15, v35, v14
	v_fma_f32 v14, v35, v14, -v15
	v_fmac_f32_e32 v14, v35, v13
	v_add_f32_e32 v13, v15, v14
	v_cmp_class_f32_e64 s[2:3], v15, s7
	v_sub_f32_e32 v16, v13, v15
	v_cndmask_b32_e64 v13, v13, v15, s[2:3]
	v_mov_b32_e32 v15, 0x37000000
	v_cmp_eq_f32_e64 s[2:3], s12, v13
	v_sub_f32_e32 v14, v14, v16
	v_cndmask_b32_e64 v16, 0, v15, s[2:3]
	v_sub_f32_e32 v19, v13, v16
	v_mul_f32_e32 v20, 0x3fb8aa3b, v19
	v_fma_f32 v21, v19, s14, -v20
	v_rndne_f32_e32 v22, v20
	v_fmac_f32_e32 v21, 0x32a5705f, v19
	v_sub_f32_e32 v20, v20, v22
	v_add_f32_e32 v20, v20, v21
	v_exp_f32_e32 v20, v20
	v_cvt_i32_f32_e32 v21, v22
	v_cmp_neq_f32_e64 s[2:3], |v13|, s6
	v_cndmask_b32_e64 v13, 0, v14, s[2:3]
	s_mov_b32 s15, 0xc2ce8ed0
	v_add_f32_e32 v14, v16, v13
	v_ldexp_f32 v13, v20, v21
	v_cmp_ngt_f32_e64 s[2:3], s15, v19
	v_cndmask_b32_e64 v16, 0, v13, s[2:3]
	v_mov_b32_e32 v13, 0x7f800000
	v_cmp_nlt_f32_e64 s[2:3], s12, v19
	v_trunc_f32_e32 v20, v35
	v_cndmask_b32_e64 v16, v13, v16, s[2:3]
	v_cndmask_b32_e64 v19, v34, 1.0, s[0:1]
	v_cmp_eq_f32_e64 s[0:1], v20, v35
	v_mul_f32_e32 v20, 0.5, v35
	v_fma_f32 v14, v16, v14, v16
	v_cmp_class_f32_e64 s[2:3], v16, s7
	v_trunc_f32_e32 v21, v20
	v_cndmask_b32_e64 v16, v14, v16, s[2:3]
	v_cmp_neq_f32_e64 s[2:3], v21, v20
	s_and_b64 s[2:3], s[0:1], s[2:3]
	v_cndmask_b32_e64 v20, 1.0, v19, s[2:3]
	s_brev_b32 s13, -2
	v_mov_b32_e32 v14, 0x7fc00000
	v_bfi_b32 v16, s13, v16, v20
	v_cndmask_b32_e64 v20, v14, v16, s[0:1]
	v_cmp_gt_f32_e64 s[0:1], 0, v19
	v_cndmask_b32_e64 v16, v16, v20, s[0:1]
	v_cndmask_b32_e64 v20, |v11|, 1.0, vcc
	v_cmp_neq_f32_e32 vcc, v35, v20
	v_cmp_gt_f32_e64 s[0:1], 1.0, v36
	s_xor_b64 s[0:1], vcc, s[0:1]
	v_cndmask_b32_e64 v21, v20, 0, s[0:1]
	v_cmp_eq_f32_e32 vcc, 1.0, v36
	v_cmp_eq_f32_e64 s[0:1], 0, v19
	v_cmp_gt_f32_e64 s[4:5], 0, v35
	v_cndmask_b32_e32 v21, v21, v36, vcc
	v_cmp_eq_f32_e32 vcc, s6, v20
	s_xor_b64 s[4:5], s[4:5], s[0:1]
	v_cndmask_b32_e32 v16, v16, v21, vcc
	v_cmp_eq_f32_e32 vcc, s6, v36
	v_cndmask_b32_e64 v20, v13, 0, s[4:5]
	v_cndmask_b32_e64 v21, 0, v19, s[2:3]
	v_bfi_b32 v20, s13, v20, v21
	s_or_b64 vcc, vcc, s[0:1]
	v_cndmask_b32_e32 v16, v16, v20, vcc
	v_div_scale_f32 v20, s[0:1], v9, v9, v12
	v_rcp_f32_e32 v21, v20
	v_cmp_o_f32_e32 vcc, v19, v35
	v_cndmask_b32_e32 v16, v14, v16, vcc
	v_mov_b32_e32 v18, 0x3e91f4c4
	v_fma_f32 v19, -v20, v21, 1.0
	v_fmac_f32_e32 v21, v19, v21
	v_div_scale_f32 v19, vcc, v12, v9, v12
	v_mul_f32_e32 v22, v19, v21
	v_fma_f32 v23, -v20, v22, v19
	v_fmac_f32_e32 v22, v23, v21
	v_fma_f32 v19, -v20, v22, v19
	v_div_fmas_f32 v19, v19, v21, v22
	v_div_fixup_f32 v36, v19, v9, v12
	v_cmp_eq_f32_e32 vcc, 1.0, v36
	v_cndmask_b32_e64 v37, v11, 1.0, vcc
	v_cmp_eq_f32_e64 s[0:1], 0, v37
	v_cndmask_b32_e64 v38, |v36|, 1.0, s[0:1]
	v_frexp_mant_f32_e32 v12, v38
	v_cmp_gt_f32_e64 s[2:3], s16, v12
	v_cndmask_b32_e64 v19, 1.0, 2.0, s[2:3]
	v_mul_f32_e32 v12, v12, v19
	v_add_f32_e32 v19, 1.0, v12
	v_rcp_f32_e32 v28, v19
	v_add_f32_e32 v20, -1.0, v19
	v_add_f32_e32 v21, -1.0, v12
	v_sub_f32_e32 v20, v12, v20
	v_mul_f32_e32 v12, v21, v28
	v_mul_f32_e32 v22, v19, v12
	v_fma_f32 v24, v12, v19, -v22
	v_fmac_f32_e32 v24, v12, v20
	v_add_f32_e32 v20, v22, v24
	v_sub_f32_e32 v23, v21, v20
	v_pk_add_f32 v[26:27], v[20:21], v[22:23] neg_lo:[0,1] neg_hi:[0,1]
	v_mov_b32_e32 v25, v20
	v_pk_add_f32 v[20:21], v[26:27], v[24:25] neg_lo:[0,1] neg_hi:[0,1]
	v_add_f32_e32 v19, v20, v21
	v_add_f32_e32 v19, v23, v19
	v_mul_f32_e32 v19, v28, v19
	v_add_f32_e32 v20, v12, v19
	v_sub_f32_e32 v12, v20, v12
	v_sub_f32_e32 v19, v19, v12
	v_mul_f32_e32 v12, v20, v20
	v_fma_f32 v21, v20, v20, -v12
	v_add_f32_e32 v22, v19, v19
	v_fmac_f32_e32 v21, v20, v22
	v_add_f32_e32 v22, v12, v21
	v_mov_b32_e32 v23, 0x3e91f4c4
	v_fmac_f32_e32 v23, 0x3e76c4e1, v22
	v_fma_f32 v23, v22, v23, v17
	v_sub_f32_e32 v12, v22, v12
	v_sub_f32_e32 v12, v21, v12
	v_mul_f32_e32 v21, v22, v23
	v_fma_f32 v24, v22, v23, -v21
	v_fmac_f32_e32 v24, v12, v23
	v_add_f32_e32 v23, v21, v24
	v_add_f32_e32 v25, 0x3f2aaaaa, v23
	v_sub_f32_e32 v21, v23, v21
	v_sub_f32_e32 v21, v24, v21
	v_add_f32_e32 v24, 0xbf2aaaaa, v25
	v_add_f32_e32 v21, 0x31739010, v21
	v_sub_f32_e32 v23, v23, v24
	v_pk_mul_f32 v[26:27], v[20:21], v[22:23]
	v_fma_f32 v24, v22, v20, -v26
	v_pk_add_f32 v[28:29], v[20:21], v[22:23]
	v_fmac_f32_e32 v24, v22, v19
	v_mov_b32_e32 v27, v29
	v_fmac_f32_e32 v24, v12, v20
	v_pk_add_f32 v[22:23], v[26:27], v[24:25]
	v_sub_f32_e32 v12, v22, v26
	v_sub_f32_e32 v21, v24, v12
	;; [unrolled: 1-line block ×3, first 2 shown]
	v_add_f32_e32 v28, v29, v12
	v_mov_b32_e32 v12, v23
	v_cvt_f64_f32_e32 v[26:27], v38
	v_pk_mul_f32 v[24:25], v[22:23], v[12:13]
	v_frexp_exp_i32_f64_e32 v12, v[26:27]
	v_subbrev_co_u32_e64 v12, s[2:3], 0, v12, s[2:3]
	v_cvt_f32_i32_e32 v12, v12
	v_fma_f32 v26, v22, v23, -v24
	v_fmac_f32_e32 v26, v22, v28
	v_fmac_f32_e32 v26, v21, v23
	v_mul_f32_e32 v22, 0x3f317218, v12
	v_fma_f32 v28, v12, s17, -v22
	v_fmac_f32_e32 v28, 0xb102e308, v12
	v_ldexp_f32 v29, v20, 1
	v_add_f32_e32 v23, v24, v26
	v_pk_add_f32 v[20:21], v[22:23], v[28:29]
	v_mov_b32_e32 v30, v23
	v_mov_b32_e32 v31, v21
	;; [unrolled: 1-line block ×3, first 2 shown]
	v_pk_add_f32 v[24:25], v[30:31], v[24:25] neg_lo:[0,1] neg_hi:[0,1]
	v_mov_b32_e32 v27, v23
	v_ldexp_f32 v12, v19, 1
	v_pk_add_f32 v[24:25], v[26:27], v[24:25] neg_lo:[0,1] neg_hi:[0,1]
	v_add_f32_e32 v12, v12, v24
	v_add_f32_e32 v23, v12, v25
	v_pk_add_f32 v[24:25], v[20:21], v[22:23] neg_lo:[0,1] neg_hi:[0,1]
	v_pk_add_f32 v[26:27], v[20:21], v[22:23]
	v_mov_b32_e32 v30, v24
	v_mov_b32_e32 v31, v27
	;; [unrolled: 1-line block ×3, first 2 shown]
	v_pk_add_f32 v[30:31], v[28:29], v[30:31]
	v_mov_b32_e32 v12, v31
	v_pk_add_f32 v[32:33], v[12:13], v[20:21] neg_lo:[0,1] neg_hi:[0,1]
	v_mov_b32_e32 v19, v32
	v_mov_b32_e32 v30, v27
	;; [unrolled: 1-line block ×4, first 2 shown]
	v_pk_add_f32 v[24:25], v[28:29], v[24:25] neg_lo:[0,1] neg_hi:[0,1]
	v_pk_add_f32 v[34:35], v[26:27], v[18:19] neg_lo:[0,1] neg_hi:[0,1]
	;; [unrolled: 1-line block ×3, first 2 shown]
	v_mov_b32_e32 v28, v23
	v_pk_add_f32 v[20:21], v[28:29], v[20:21] neg_lo:[0,1] neg_hi:[0,1]
	v_mov_b32_e32 v34, v24
	v_pk_add_f32 v[22:23], v[34:35], v[20:21]
	v_mov_b32_e32 v26, v23
	v_pk_add_f32 v[26:27], v[22:23], v[26:27]
	v_pk_add_f32 v[28:29], v[12:13], v[26:27]
	v_mov_b32_e32 v25, v31
	v_mov_b32_e32 v23, v28
	v_pk_add_f32 v[30:31], v[22:23], v[24:25] neg_lo:[0,1] neg_hi:[0,1]
	v_mov_b32_e32 v21, v26
	v_sub_f32_e32 v12, v22, v30
	v_pk_add_f32 v[20:21], v[20:21], v[30:31] neg_lo:[0,1] neg_hi:[0,1]
	v_sub_f32_e32 v12, v24, v12
	v_add_f32_e32 v12, v20, v12
	v_add_f32_e32 v12, v12, v21
	;; [unrolled: 1-line block ×3, first 2 shown]
	v_sub_f32_e32 v20, v19, v28
	v_sub_f32_e32 v12, v12, v20
	v_mul_f32_e32 v20, v37, v19
	v_fma_f32 v19, v37, v19, -v20
	v_fmac_f32_e32 v19, v37, v12
	v_add_f32_e32 v12, v20, v19
	v_cmp_class_f32_e64 s[2:3], v20, s7
	v_sub_f32_e32 v21, v12, v20
	v_cndmask_b32_e64 v12, v12, v20, s[2:3]
	v_cmp_eq_f32_e64 s[2:3], s12, v12
	v_cndmask_b32_e64 v20, 0, v15, s[2:3]
	v_sub_f32_e32 v19, v19, v21
	v_sub_f32_e32 v21, v12, v20
	v_mul_f32_e32 v22, 0x3fb8aa3b, v21
	v_fma_f32 v23, v21, s14, -v22
	v_rndne_f32_e32 v24, v22
	v_fmac_f32_e32 v23, 0x32a5705f, v21
	v_sub_f32_e32 v22, v22, v24
	v_add_f32_e32 v22, v22, v23
	v_exp_f32_e32 v22, v22
	v_cvt_i32_f32_e32 v23, v24
	v_cmp_neq_f32_e64 s[2:3], |v12|, s6
	v_cndmask_b32_e64 v12, 0, v19, s[2:3]
	v_cmp_ngt_f32_e64 s[2:3], s15, v21
	v_ldexp_f32 v19, v22, v23
	v_cndmask_b32_e64 v19, 0, v19, s[2:3]
	v_cmp_nlt_f32_e64 s[2:3], s12, v21
	v_add_f32_e32 v12, v20, v12
	v_cndmask_b32_e64 v19, v13, v19, s[2:3]
	v_fma_f32 v12, v19, v12, v19
	v_cmp_class_f32_e64 s[2:3], v19, s7
	v_trunc_f32_e32 v20, v37
	v_cndmask_b32_e64 v12, v12, v19, s[2:3]
	v_cndmask_b32_e64 v19, v36, 1.0, s[0:1]
	v_cmp_eq_f32_e64 s[0:1], v20, v37
	v_mul_f32_e32 v20, 0.5, v37
	v_trunc_f32_e32 v21, v20
	v_cmp_neq_f32_e64 s[2:3], v21, v20
	s_and_b64 s[2:3], s[0:1], s[2:3]
	v_cndmask_b32_e64 v20, 1.0, v19, s[2:3]
	v_bfi_b32 v12, s13, v12, v20
	v_cndmask_b32_e64 v20, v14, v12, s[0:1]
	v_cmp_gt_f32_e64 s[0:1], 0, v19
	v_cndmask_b32_e64 v12, v12, v20, s[0:1]
	v_cndmask_b32_e64 v20, |v11|, 1.0, vcc
	v_cmp_neq_f32_e32 vcc, v37, v20
	v_cmp_gt_f32_e64 s[0:1], 1.0, v38
	s_xor_b64 s[0:1], vcc, s[0:1]
	v_cndmask_b32_e64 v21, v20, 0, s[0:1]
	v_cmp_eq_f32_e32 vcc, 1.0, v38
	v_cmp_eq_f32_e64 s[0:1], 0, v19
	v_cmp_gt_f32_e64 s[4:5], 0, v37
	v_cndmask_b32_e32 v21, v21, v38, vcc
	v_cmp_eq_f32_e32 vcc, s6, v20
	s_xor_b64 s[4:5], s[4:5], s[0:1]
	v_cndmask_b32_e32 v12, v12, v21, vcc
	v_cmp_eq_f32_e32 vcc, s6, v38
	v_cndmask_b32_e64 v20, v13, 0, s[4:5]
	v_cndmask_b32_e64 v21, 0, v19, s[2:3]
	v_bfi_b32 v20, s13, v20, v21
	s_or_b64 vcc, vcc, s[0:1]
	v_cndmask_b32_e32 v12, v12, v20, vcc
	v_div_scale_f32 v20, s[0:1], v9, v9, v8
	v_rcp_f32_e32 v21, v20
	v_cmp_o_f32_e32 vcc, v19, v37
	v_cndmask_b32_e32 v12, v14, v12, vcc
	v_mul_f32_e32 v16, v16, v10
	v_fma_f32 v19, -v20, v21, 1.0
	v_fmac_f32_e32 v21, v19, v21
	v_div_scale_f32 v19, vcc, v8, v9, v8
	v_mul_f32_e32 v22, v19, v21
	v_fma_f32 v23, -v20, v22, v19
	v_fmac_f32_e32 v22, v23, v21
	v_fma_f32 v19, -v20, v22, v19
	v_div_fmas_f32 v19, v19, v21, v22
	v_div_fixup_f32 v19, v19, v9, v8
	v_cmp_eq_f32_e32 vcc, 1.0, v19
	v_cndmask_b32_e64 v8, v11, 1.0, vcc
	v_cmp_eq_f32_e64 s[0:1], 0, v8
	v_cndmask_b32_e64 v9, |v19|, 1.0, s[0:1]
	v_frexp_mant_f32_e32 v20, v9
	v_cmp_gt_f32_e64 s[2:3], s16, v20
	v_cndmask_b32_e64 v21, 1.0, 2.0, s[2:3]
	v_mul_f32_e32 v20, v20, v21
	v_add_f32_e32 v23, 1.0, v20
	v_rcp_f32_e32 v28, v23
	v_add_f32_e32 v21, -1.0, v23
	v_sub_f32_e32 v25, v20, v21
	v_add_f32_e32 v21, -1.0, v20
	v_mul_f32_e32 v29, v21, v28
	v_mul_f32_e32 v22, v23, v29
	v_fma_f32 v24, v29, v23, -v22
	v_fmac_f32_e32 v24, v29, v25
	v_add_f32_e32 v20, v22, v24
	v_sub_f32_e32 v23, v21, v20
	v_pk_add_f32 v[26:27], v[20:21], v[22:23] neg_lo:[0,1] neg_hi:[0,1]
	v_mov_b32_e32 v25, v20
	v_pk_add_f32 v[20:21], v[26:27], v[24:25] neg_lo:[0,1] neg_hi:[0,1]
	v_add_f32_e32 v20, v20, v21
	v_add_f32_e32 v20, v23, v20
	v_mul_f32_e32 v21, v28, v20
	v_add_f32_e32 v20, v29, v21
	v_sub_f32_e32 v22, v20, v29
	v_sub_f32_e32 v30, v21, v22
	v_mul_f32_e32 v21, v20, v20
	v_fma_f32 v23, v20, v20, -v21
	v_add_f32_e32 v22, v30, v30
	v_fmac_f32_e32 v23, v20, v22
	v_add_f32_e32 v22, v21, v23
	v_fmac_f32_e32 v18, 0x3e76c4e1, v22
	v_fmac_f32_e32 v17, v22, v18
	v_sub_f32_e32 v18, v22, v21
	v_mul_f32_e32 v21, v22, v17
	v_sub_f32_e32 v18, v23, v18
	v_fma_f32 v23, v22, v17, -v21
	v_fmac_f32_e32 v23, v18, v17
	v_add_f32_e32 v17, v21, v23
	v_add_f32_e32 v25, 0x3f2aaaaa, v17
	v_sub_f32_e32 v21, v17, v21
	v_sub_f32_e32 v21, v23, v21
	v_add_f32_e32 v23, 0xbf2aaaaa, v25
	v_add_f32_e32 v21, 0x31739010, v21
	v_sub_f32_e32 v23, v17, v23
	v_pk_mul_f32 v[26:27], v[20:21], v[22:23]
	v_fma_f32 v24, v22, v20, -v26
	v_pk_add_f32 v[28:29], v[20:21], v[22:23]
	v_fmac_f32_e32 v24, v22, v30
	v_mov_b32_e32 v27, v29
	v_fmac_f32_e32 v24, v18, v20
	v_pk_add_f32 v[22:23], v[26:27], v[24:25]
	v_sub_f32_e32 v18, v25, v23
	v_sub_f32_e32 v17, v22, v26
	v_add_f32_e32 v21, v29, v18
	v_mov_b32_e32 v18, v23
	v_cvt_f64_f32_e32 v[26:27], v9
	v_sub_f32_e32 v17, v24, v17
	v_pk_mul_f32 v[24:25], v[22:23], v[18:19]
	v_frexp_exp_i32_f64_e32 v18, v[26:27]
	v_subbrev_co_u32_e64 v18, s[2:3], 0, v18, s[2:3]
	v_cvt_f32_i32_e32 v18, v18
	v_fma_f32 v26, v22, v23, -v24
	v_fmac_f32_e32 v26, v22, v21
	v_fmac_f32_e32 v26, v17, v23
	v_mul_f32_e32 v22, 0x3f317218, v18
	v_fma_f32 v28, v18, s17, -v22
	v_fmac_f32_e32 v28, 0xb102e308, v18
	v_ldexp_f32 v29, v20, 1
	v_add_f32_e32 v23, v24, v26
	v_pk_add_f32 v[20:21], v[22:23], v[28:29]
	v_ldexp_f32 v17, v30, 1
	v_mov_b32_e32 v30, v23
	v_mov_b32_e32 v31, v21
	;; [unrolled: 1-line block ×3, first 2 shown]
	v_pk_add_f32 v[24:25], v[30:31], v[24:25] neg_lo:[0,1] neg_hi:[0,1]
	v_mov_b32_e32 v27, v23
	v_pk_add_f32 v[24:25], v[26:27], v[24:25] neg_lo:[0,1] neg_hi:[0,1]
	v_add_f32_e32 v17, v17, v24
	v_add_f32_e32 v23, v17, v25
	v_pk_add_f32 v[24:25], v[20:21], v[22:23] neg_lo:[0,1] neg_hi:[0,1]
	v_pk_add_f32 v[26:27], v[20:21], v[22:23]
	v_mov_b32_e32 v30, v24
	v_mov_b32_e32 v31, v27
	;; [unrolled: 1-line block ×3, first 2 shown]
	v_pk_add_f32 v[30:31], v[28:29], v[30:31]
	v_mov_b32_e32 v18, v31
	v_pk_add_f32 v[32:33], v[18:19], v[20:21] neg_lo:[0,1] neg_hi:[0,1]
	v_mov_b32_e32 v17, v32
	v_mov_b32_e32 v30, v27
	;; [unrolled: 1-line block ×4, first 2 shown]
	v_pk_add_f32 v[24:25], v[28:29], v[24:25] neg_lo:[0,1] neg_hi:[0,1]
	v_pk_add_f32 v[34:35], v[26:27], v[16:17] neg_lo:[0,1] neg_hi:[0,1]
	;; [unrolled: 1-line block ×3, first 2 shown]
	v_mov_b32_e32 v28, v23
	v_pk_add_f32 v[20:21], v[28:29], v[20:21] neg_lo:[0,1] neg_hi:[0,1]
	v_mov_b32_e32 v34, v24
	v_pk_add_f32 v[22:23], v[34:35], v[20:21]
	v_mov_b32_e32 v26, v23
	v_pk_add_f32 v[26:27], v[22:23], v[26:27]
	v_pk_add_f32 v[28:29], v[18:19], v[26:27]
	v_mov_b32_e32 v25, v31
	v_mov_b32_e32 v23, v28
	v_pk_add_f32 v[30:31], v[22:23], v[24:25] neg_lo:[0,1] neg_hi:[0,1]
	v_mov_b32_e32 v21, v26
	v_sub_f32_e32 v17, v22, v30
	v_pk_add_f32 v[20:21], v[20:21], v[30:31] neg_lo:[0,1] neg_hi:[0,1]
	v_sub_f32_e32 v17, v24, v17
	v_add_f32_e32 v17, v20, v17
	v_add_f32_e32 v17, v17, v21
	;; [unrolled: 1-line block ×3, first 2 shown]
	v_add_u32_e32 v6, 3, v6
	v_sub_f32_e32 v20, v18, v28
	v_lshlrev_b64 v[6:7], 2, v[6:7]
	v_sub_f32_e32 v17, v17, v20
	v_mov_b32_e32 v21, s9
	v_add_co_u32_e64 v20, s[2:3], s8, v6
	v_addc_co_u32_e64 v21, s[2:3], v21, v7, s[2:3]
	global_load_dword v20, v[20:21], off
	v_mul_f32_e32 v22, v8, v18
	v_fma_f32 v18, v8, v18, -v22
	v_fmac_f32_e32 v18, v8, v17
	v_add_f32_e32 v17, v22, v18
	v_cmp_class_f32_e64 s[2:3], v22, s7
	v_sub_f32_e32 v21, v17, v22
	v_cndmask_b32_e64 v17, v17, v22, s[2:3]
	v_cmp_eq_f32_e64 s[2:3], s12, v17
	v_cndmask_b32_e64 v15, 0, v15, s[2:3]
	v_sub_f32_e32 v18, v18, v21
	v_sub_f32_e32 v21, v17, v15
	v_mul_f32_e32 v22, 0x3fb8aa3b, v21
	v_fma_f32 v23, v21, s14, -v22
	v_rndne_f32_e32 v24, v22
	v_fmac_f32_e32 v23, 0x32a5705f, v21
	v_sub_f32_e32 v22, v22, v24
	v_add_f32_e32 v22, v22, v23
	v_exp_f32_e32 v22, v22
	v_cvt_i32_f32_e32 v23, v24
	v_cmp_neq_f32_e64 s[2:3], |v17|, s6
	v_cndmask_b32_e64 v17, 0, v18, s[2:3]
	v_add_f32_e32 v15, v15, v17
	v_ldexp_f32 v17, v22, v23
	v_cmp_ngt_f32_e64 s[2:3], s15, v21
	v_cndmask_b32_e64 v17, 0, v17, s[2:3]
	v_cmp_nlt_f32_e64 s[2:3], s12, v21
	v_cndmask_b32_e64 v17, v13, v17, s[2:3]
	v_fma_f32 v15, v17, v15, v17
	v_cmp_class_f32_e64 s[2:3], v17, s7
	v_trunc_f32_e32 v18, v8
	v_cndmask_b32_e64 v15, v15, v17, s[2:3]
	v_cndmask_b32_e64 v17, v19, 1.0, s[0:1]
	v_cmp_eq_f32_e64 s[0:1], v18, v8
	v_mul_f32_e32 v18, 0.5, v8
	v_trunc_f32_e32 v19, v18
	v_cmp_neq_f32_e64 s[2:3], v19, v18
	s_and_b64 s[2:3], s[0:1], s[2:3]
	v_cndmask_b32_e64 v18, 1.0, v17, s[2:3]
	v_bfi_b32 v15, s13, v15, v18
	v_cndmask_b32_e64 v18, v14, v15, s[0:1]
	v_cmp_gt_f32_e64 s[0:1], 0, v17
	v_cndmask_b32_e64 v11, |v11|, 1.0, vcc
	v_cndmask_b32_e64 v15, v15, v18, s[0:1]
	v_cmp_neq_f32_e32 vcc, v8, v11
	v_cmp_gt_f32_e64 s[0:1], 1.0, v9
	s_xor_b64 s[0:1], vcc, s[0:1]
	v_cndmask_b32_e64 v18, v11, 0, s[0:1]
	v_cmp_eq_f32_e32 vcc, 1.0, v9
	v_cmp_eq_f32_e64 s[0:1], 0, v17
	v_cmp_gt_f32_e64 s[4:5], 0, v8
	v_cndmask_b32_e32 v18, v18, v9, vcc
	v_cmp_eq_f32_e32 vcc, s6, v11
	s_xor_b64 s[4:5], s[4:5], s[0:1]
	v_cndmask_b32_e32 v11, v15, v18, vcc
	v_cmp_eq_f32_e32 vcc, s6, v9
	v_cndmask_b32_e64 v9, v13, 0, s[4:5]
	v_cndmask_b32_e64 v13, 0, v17, s[2:3]
	v_bfi_b32 v9, s13, v9, v13
	s_or_b64 vcc, vcc, s[0:1]
	v_cndmask_b32_e32 v9, v11, v9, vcc
	v_cmp_o_f32_e32 vcc, v17, v8
	v_cndmask_b32_e32 v8, v14, v9, vcc
	v_mov_b32_e32 v9, s11
	v_add_co_u32_e32 v0, vcc, s10, v0
	v_addc_co_u32_e32 v1, vcc, v9, v1, vcc
	global_store_dword v[0:1], v16, off
	v_add_co_u32_e32 v0, vcc, s10, v2
	v_mul_f32_e32 v12, v12, v10
	v_addc_co_u32_e32 v1, vcc, v9, v3, vcc
	global_store_dword v[0:1], v12, off
	v_add_co_u32_e32 v0, vcc, s10, v4
	v_mul_f32_e32 v8, v8, v10
	v_addc_co_u32_e32 v1, vcc, v9, v5, vcc
	global_store_dword v[0:1], v8, off
	v_add_co_u32_e32 v0, vcc, s10, v6
	v_addc_co_u32_e32 v1, vcc, v9, v7, vcc
	s_waitcnt vmcnt(3)
	global_store_dword v[0:1], v20, off
	s_endpgm
	.section	.rodata,"a",@progbits
	.p2align	6, 0x0
	.amdhsa_kernel _Z11toneMappingPKfPfffffjjj
		.amdhsa_group_segment_fixed_size 0
		.amdhsa_private_segment_fixed_size 0
		.amdhsa_kernarg_size 304
		.amdhsa_user_sgpr_count 6
		.amdhsa_user_sgpr_private_segment_buffer 1
		.amdhsa_user_sgpr_dispatch_ptr 0
		.amdhsa_user_sgpr_queue_ptr 0
		.amdhsa_user_sgpr_kernarg_segment_ptr 1
		.amdhsa_user_sgpr_dispatch_id 0
		.amdhsa_user_sgpr_flat_scratch_init 0
		.amdhsa_user_sgpr_kernarg_preload_length 0
		.amdhsa_user_sgpr_kernarg_preload_offset 0
		.amdhsa_user_sgpr_private_segment_size 0
		.amdhsa_uses_dynamic_stack 0
		.amdhsa_system_sgpr_private_segment_wavefront_offset 0
		.amdhsa_system_sgpr_workgroup_id_x 1
		.amdhsa_system_sgpr_workgroup_id_y 1
		.amdhsa_system_sgpr_workgroup_id_z 0
		.amdhsa_system_sgpr_workgroup_info 0
		.amdhsa_system_vgpr_workitem_id 1
		.amdhsa_next_free_vgpr 51
		.amdhsa_next_free_sgpr 20
		.amdhsa_accum_offset 52
		.amdhsa_reserve_vcc 1
		.amdhsa_reserve_flat_scratch 0
		.amdhsa_float_round_mode_32 0
		.amdhsa_float_round_mode_16_64 0
		.amdhsa_float_denorm_mode_32 3
		.amdhsa_float_denorm_mode_16_64 3
		.amdhsa_dx10_clamp 1
		.amdhsa_ieee_mode 1
		.amdhsa_fp16_overflow 0
		.amdhsa_tg_split 0
		.amdhsa_exception_fp_ieee_invalid_op 0
		.amdhsa_exception_fp_denorm_src 0
		.amdhsa_exception_fp_ieee_div_zero 0
		.amdhsa_exception_fp_ieee_overflow 0
		.amdhsa_exception_fp_ieee_underflow 0
		.amdhsa_exception_fp_ieee_inexact 0
		.amdhsa_exception_int_div_zero 0
	.end_amdhsa_kernel
	.text
.Lfunc_end0:
	.size	_Z11toneMappingPKfPfffffjjj, .Lfunc_end0-_Z11toneMappingPKfPfffffjjj
                                        ; -- End function
	.section	.AMDGPU.csdata,"",@progbits
; Kernel info:
; codeLenInByte = 5116
; NumSgprs: 24
; NumVgprs: 51
; NumAgprs: 0
; TotalNumVgprs: 51
; ScratchSize: 0
; MemoryBound: 0
; FloatMode: 240
; IeeeMode: 1
; LDSByteSize: 0 bytes/workgroup (compile time only)
; SGPRBlocks: 2
; VGPRBlocks: 6
; NumSGPRsForWavesPerEU: 24
; NumVGPRsForWavesPerEU: 51
; AccumOffset: 52
; Occupancy: 8
; WaveLimiterHint : 0
; COMPUTE_PGM_RSRC2:SCRATCH_EN: 0
; COMPUTE_PGM_RSRC2:USER_SGPR: 6
; COMPUTE_PGM_RSRC2:TRAP_HANDLER: 0
; COMPUTE_PGM_RSRC2:TGID_X_EN: 1
; COMPUTE_PGM_RSRC2:TGID_Y_EN: 1
; COMPUTE_PGM_RSRC2:TGID_Z_EN: 0
; COMPUTE_PGM_RSRC2:TIDIG_COMP_CNT: 1
; COMPUTE_PGM_RSRC3_GFX90A:ACCUM_OFFSET: 12
; COMPUTE_PGM_RSRC3_GFX90A:TG_SPLIT: 0
	.text
	.p2alignl 6, 3212836864
	.fill 256, 4, 3212836864
	.type	__hip_cuid_97b2b7eaea3ca6d8,@object ; @__hip_cuid_97b2b7eaea3ca6d8
	.section	.bss,"aw",@nobits
	.globl	__hip_cuid_97b2b7eaea3ca6d8
__hip_cuid_97b2b7eaea3ca6d8:
	.byte	0                               ; 0x0
	.size	__hip_cuid_97b2b7eaea3ca6d8, 1

	.ident	"AMD clang version 19.0.0git (https://github.com/RadeonOpenCompute/llvm-project roc-6.4.0 25133 c7fe45cf4b819c5991fe208aaa96edf142730f1d)"
	.section	".note.GNU-stack","",@progbits
	.addrsig
	.addrsig_sym __hip_cuid_97b2b7eaea3ca6d8
	.amdgpu_metadata
---
amdhsa.kernels:
  - .agpr_count:     0
    .args:
      - .actual_access:  read_only
        .address_space:  global
        .offset:         0
        .size:           8
        .value_kind:     global_buffer
      - .actual_access:  write_only
        .address_space:  global
        .offset:         8
        .size:           8
        .value_kind:     global_buffer
      - .offset:         16
        .size:           4
        .value_kind:     by_value
      - .offset:         20
        .size:           4
        .value_kind:     by_value
      - .offset:         24
        .size:           4
        .value_kind:     by_value
      - .offset:         28
        .size:           4
        .value_kind:     by_value
      - .offset:         32
        .size:           4
        .value_kind:     by_value
      - .offset:         36
        .size:           4
        .value_kind:     by_value
      - .offset:         40
        .size:           4
        .value_kind:     by_value
      - .offset:         48
        .size:           4
        .value_kind:     hidden_block_count_x
      - .offset:         52
        .size:           4
        .value_kind:     hidden_block_count_y
      - .offset:         56
        .size:           4
        .value_kind:     hidden_block_count_z
      - .offset:         60
        .size:           2
        .value_kind:     hidden_group_size_x
      - .offset:         62
        .size:           2
        .value_kind:     hidden_group_size_y
      - .offset:         64
        .size:           2
        .value_kind:     hidden_group_size_z
      - .offset:         66
        .size:           2
        .value_kind:     hidden_remainder_x
      - .offset:         68
        .size:           2
        .value_kind:     hidden_remainder_y
      - .offset:         70
        .size:           2
        .value_kind:     hidden_remainder_z
      - .offset:         88
        .size:           8
        .value_kind:     hidden_global_offset_x
      - .offset:         96
        .size:           8
        .value_kind:     hidden_global_offset_y
      - .offset:         104
        .size:           8
        .value_kind:     hidden_global_offset_z
      - .offset:         112
        .size:           2
        .value_kind:     hidden_grid_dims
    .group_segment_fixed_size: 0
    .kernarg_segment_align: 8
    .kernarg_segment_size: 304
    .language:       OpenCL C
    .language_version:
      - 2
      - 0
    .max_flat_workgroup_size: 1024
    .name:           _Z11toneMappingPKfPfffffjjj
    .private_segment_fixed_size: 0
    .sgpr_count:     24
    .sgpr_spill_count: 0
    .symbol:         _Z11toneMappingPKfPfffffjjj.kd
    .uniform_work_group_size: 1
    .uses_dynamic_stack: false
    .vgpr_count:     51
    .vgpr_spill_count: 0
    .wavefront_size: 64
amdhsa.target:   amdgcn-amd-amdhsa--gfx90a
amdhsa.version:
  - 1
  - 2
...

	.end_amdgpu_metadata
